;; amdgpu-corpus repo=ROCm/hip-tests kind=compiled arch=gfx950 opt=O3
	.amdgcn_target "amdgcn-amd-amdhsa--gfx950"
	.amdhsa_code_object_version 6
	.text
	.protected	_Z8test_gwsPjjPyS0_     ; -- Begin function _Z8test_gwsPjjPyS0_
	.globl	_Z8test_gwsPjjPyS0_
	.p2align	8
	.type	_Z8test_gwsPjjPyS0_,@function
_Z8test_gwsPjjPyS0_:                    ; @_Z8test_gwsPjjPyS0_
; %bb.0:
	s_load_dwordx2 s[16:17], s[0:1], 0x2c
	s_load_dwordx2 s[14:15], s[0:1], 0x20
	s_add_u32 s10, s0, 32
	s_mov_b32 s5, s3
	s_addc_u32 s11, s1, 0
	s_waitcnt lgkmcnt(0)
	s_and_b32 s18, s17, 0xffff
	s_lshr_b32 s3, s16, 16
	s_cmp_lt_u32 s2, s14
	s_cselect_b32 s8, 12, 18
	s_add_u32 s8, s10, s8
	s_addc_u32 s9, s11, 0
	v_mov_b32_e32 v7, 0
	s_load_dwordx2 s[6:7], s[0:1], 0x78
	global_load_ushort v5, v7, s[8:9]
	s_mul_i32 s19, s15, s4
	s_add_i32 s19, s19, s5
	s_mul_i32 s19, s19, s14
	s_load_dword s8, s[0:1], 0x8
	s_add_i32 s19, s19, s2
	v_bfe_u32 v3, v0, 20, 10
	s_waitcnt lgkmcnt(0)
	s_load_dwordx2 s[12:13], s[6:7], 0x8
	s_mul_i32 s19, s19, s18
	v_bfe_u32 v2, v0, 10, 10
	v_and_b32_e32 v4, 0x3ff, v0
	v_add_u32_e32 v0, s19, v3
	s_mul_i32 s17, s18, s3
	v_mad_u64_u32 v[0:1], s[18:19], v0, s3, v[2:3]
	s_mov_b32 s9, 0
	v_mov_b64_e32 v[8:9], 0
	s_waitcnt vmcnt(0)
	v_mad_u64_u32 v[0:1], s[18:19], v0, v5, v[4:5]
	v_mov_b32_e32 v1, v7
	v_cmp_gt_u32_e32 vcc, s8, v0
	s_and_saveexec_b64 s[18:19], vcc
	s_cbranch_execz .LBB0_4
; %bb.1:
	s_load_dword s22, s[10:11], 0x8
	s_load_dwordx2 s[20:21], s[0:1], 0x0
	s_mul_i32 s10, s17, s14
	s_mul_i32 s10, s10, s15
	v_mov_b32_e32 v11, v7
	s_waitcnt lgkmcnt(0)
	s_mul_i32 s10, s10, s22
	v_mul_lo_u32 v10, s10, v5
	v_lshl_add_u64 v[12:13], v[0:1], 2, s[20:21]
	v_lshlrev_b64 v[14:15], 2, v[10:11]
	s_mov_b64 s[10:11], 0
	v_mov_b64_e32 v[8:9], 0
	v_mov_b64_e32 v[16:17], v[0:1]
.LBB0_2:                                ; =>This Inner Loop Header: Depth=1
	global_load_dword v6, v[12:13], off
	v_lshl_add_u64 v[16:17], v[16:17], 0, v[10:11]
	v_cmp_le_u64_e32 vcc, s[8:9], v[16:17]
	v_lshl_add_u64 v[12:13], v[12:13], 0, v[14:15]
	s_or_b64 s[10:11], vcc, s[10:11]
	s_waitcnt vmcnt(0)
	v_lshl_add_u64 v[8:9], v[8:9], 0, v[6:7]
	s_andn2_b64 exec, exec, s[10:11]
	s_cbranch_execnz .LBB0_2
; %bb.3:
	s_or_b64 exec, exec, s[10:11]
.LBB0_4:
	s_or_b64 exec, exec, s[18:19]
	s_load_dwordx4 s[8:11], s[0:1], 0x10
	s_and_b32 s15, s16, 0xffff
	v_mad_u32_u24 v5, v3, s3, v2
	v_mad_u64_u32 v[6:7], s[0:1], v5, s15, v[4:5]
	v_lshl_add_u32 v5, v6, 3, 0
	v_cmp_eq_u32_e32 vcc, 0, v6
	ds_write_b64 v5, v[8:9]
	s_waitcnt lgkmcnt(0)
	s_barrier
	s_and_saveexec_b64 s[0:1], vcc
	s_cbranch_execz .LBB0_15
; %bb.5:
	s_mul_i32 s3, s17, s15
	s_cmp_eq_u32 s3, 0
	s_cbranch_scc1 .LBB0_10
; %bb.6:
	s_cmp_lt_u32 s3, 8
	s_mov_b32 s17, 0
	s_cbranch_scc1 .LBB0_11
; %bb.7:
	s_and_b32 s16, s3, -8
	s_mov_b64 s[18:19], 0
	v_mov_b64_e32 v[6:7], 0
	s_mov_b32 s15, s17
.LBB0_8:                                ; =>This Inner Loop Header: Depth=1
	v_mov_b32_e32 v5, s15
	ds_read2_b64 v[8:11], v5 offset1:1
	ds_read2_b64 v[12:15], v5 offset0:2 offset1:3
	ds_read2_b64 v[16:19], v5 offset0:4 offset1:5
	;; [unrolled: 1-line block ×3, first 2 shown]
	s_add_u32 s18, s18, 8
	s_waitcnt lgkmcnt(3)
	v_lshl_add_u64 v[6:7], v[8:9], 0, v[6:7]
	v_lshl_add_u64 v[6:7], v[10:11], 0, v[6:7]
	s_waitcnt lgkmcnt(2)
	v_lshl_add_u64 v[6:7], v[12:13], 0, v[6:7]
	v_lshl_add_u64 v[6:7], v[14:15], 0, v[6:7]
	;; [unrolled: 3-line block ×3, first 2 shown]
	s_addc_u32 s19, s19, 0
	s_add_i32 s15, s15, 64
	s_waitcnt lgkmcnt(0)
	v_lshl_add_u64 v[6:7], v[20:21], 0, v[6:7]
	s_cmp_eq_u64 s[16:17], s[18:19]
	v_lshl_add_u64 v[6:7], v[22:23], 0, v[6:7]
	s_cbranch_scc0 .LBB0_8
; %bb.9:
	s_and_b32 s18, s3, 7
	s_mov_b32 s19, 0
	s_cmp_eq_u64 s[18:19], 0
	s_cbranch_scc0 .LBB0_12
	s_branch .LBB0_14
.LBB0_10:
	v_mov_b64_e32 v[6:7], 0
	s_branch .LBB0_14
.LBB0_11:
	s_mov_b64 s[16:17], 0
	v_mov_b64_e32 v[6:7], 0
	s_and_b32 s18, s3, 7
	s_mov_b32 s19, 0
	s_cmp_eq_u64 s[18:19], 0
	s_cbranch_scc1 .LBB0_14
.LBB0_12:
	s_lshl_b32 s3, s16, 3
	s_add_i32 s3, s3, 0
.LBB0_13:                               ; =>This Inner Loop Header: Depth=1
	v_mov_b32_e32 v5, s3
	ds_read_b64 v[8:9], v5
	s_add_i32 s3, s3, 8
	s_add_u32 s18, s18, -1
	s_addc_u32 s19, s19, -1
	s_cmp_lg_u64 s[18:19], 0
	s_waitcnt lgkmcnt(0)
	v_lshl_add_u64 v[6:7], v[8:9], 0, v[6:7]
	s_cbranch_scc1 .LBB0_13
.LBB0_14:
	s_mov_b32 s3, 0
	s_lshl_b64 s[16:17], s[2:3], 3
	s_add_u32 s16, s8, s16
	s_addc_u32 s17, s9, s17
	v_mov_b32_e32 v5, 0
	global_store_dwordx2 v5, v[6:7], s[16:17]
.LBB0_15:
	s_or_b64 exec, exec, s[0:1]
	v_or_b32_e32 v2, v4, v2
	v_or_b32_e32 v4, v2, v3
	v_cmp_eq_u32_e32 vcc, 0, v4
	s_barrier
	s_and_saveexec_b64 s[16:17], vcc
	s_cbranch_execz .LBB0_25
; %bb.16:
	v_mov_b32_e32 v6, 0
	buffer_wbl2 sc1
	s_waitcnt vmcnt(0)
	global_load_dword v4, v6, s[6:7] offset:40
	s_mov_b64 s[18:19], exec
	v_mbcnt_lo_u32_b32 v5, s18, 0
	v_mbcnt_hi_u32_b32 v5, s19, v5
	v_cmp_eq_u32_e64 s[0:1], 0, v5
                                        ; implicit-def: $vgpr7
	s_and_saveexec_b64 s[20:21], s[0:1]
	s_cbranch_execz .LBB0_18
; %bb.17:
	s_bcnt1_i32_b64 s0, s[18:19]
	v_mov_b32_e32 v7, s0
	global_atomic_add v7, v6, v7, s[6:7] offset:32 sc0
.LBB0_18:
	s_or_b64 exec, exec, s[20:21]
	s_waitcnt vmcnt(0)
	v_readfirstlane_b32 s0, v7
	v_add_u32_e32 v6, -1, v4
	s_nop 0
	v_add_u32_e32 v5, s0, v5
	v_cmp_eq_u32_sdwa s[0:1], v5, v6 src0_sel:WORD_0 src1_sel:DWORD
	s_and_saveexec_b64 s[18:19], s[0:1]
	s_cbranch_execz .LBB0_21
; %bb.19:
	s_mov_b64 s[20:21], exec
	v_mbcnt_lo_u32_b32 v6, s20, 0
	v_mbcnt_hi_u32_b32 v6, s21, v6
	v_cmp_eq_u32_e64 s[0:1], 0, v6
	s_and_b64 s[0:1], exec, s[0:1]
	s_mov_b64 exec, s[0:1]
	s_cbranch_execz .LBB0_21
; %bb.20:
	v_sub_u32_e32 v4, 0x10000, v4
	s_bcnt1_i32_b64 s0, s[20:21]
	v_mul_lo_u32 v4, v4, s0
	v_mov_b32_e32 v6, 0
	global_atomic_add v6, v4, s[6:7] offset:32
.LBB0_21:
	s_or_b64 exec, exec, s[18:19]
	v_mov_b32_e32 v4, 0
	global_load_dword v6, v4, s[6:7] offset:32 sc1
	v_and_b32_e32 v5, 0xffff0000, v5
	s_waitcnt vmcnt(0)
	v_and_b32_e32 v6, 0xffff0000, v6
	v_cmp_eq_u32_e64 s[0:1], v6, v5
	s_and_b64 exec, exec, s[0:1]
	s_cbranch_execz .LBB0_24
; %bb.22:
	s_mov_b64 s[18:19], 0
.LBB0_23:                               ; =>This Inner Loop Header: Depth=1
	s_sleep 1
	global_load_dword v6, v4, s[6:7] offset:32 sc1
	s_waitcnt vmcnt(0)
	v_and_b32_e32 v6, 0xffff0000, v6
	v_cmp_ne_u32_e64 s[0:1], v6, v5
	s_or_b64 s[18:19], s[0:1], s[18:19]
	s_andn2_b64 exec, exec, s[18:19]
	s_cbranch_execnz .LBB0_23
.LBB0_24:
	buffer_inv sc1
.LBB0_25:
	s_or_b64 exec, exec, s[16:17]
	v_cmp_gt_u32_e64 s[0:1], s14, v0
	s_barrier
	s_and_saveexec_b64 s[14:15], s[0:1]
	s_cbranch_execz .LBB0_30
; %bb.26:
	v_lshl_add_u64 v[0:1], v[0:1], 3, s[8:9]
	global_load_dwordx2 v[0:1], v[0:1], off
	s_mov_b64 s[0:1], exec
	s_mov_b64 s[8:9], 0
.LBB0_27:                               ; =>This Inner Loop Header: Depth=1
	s_ff1_i32_b64 s3, s[0:1]
	s_waitcnt vmcnt(0)
	v_readlane_b32 s17, v0, s3
	v_readlane_b32 s16, v1, s3
	s_add_u32 s8, s8, s17
	s_addc_u32 s9, s9, s16
	s_lshl_b64 s[16:17], 1, s3
	s_andn2_b64 s[0:1], s[0:1], s[16:17]
	s_cmp_lg_u64 s[0:1], 0
	s_cbranch_scc1 .LBB0_27
; %bb.28:
	v_mbcnt_lo_u32_b32 v0, exec_lo, 0
	v_mbcnt_hi_u32_b32 v0, exec_hi, v0
	s_mov_b32 s17, 0
	v_cmp_eq_u32_e64 s[0:1], 0, v0
	s_and_saveexec_b64 s[18:19], s[0:1]
	s_xor_b64 s[18:19], exec, s[18:19]
	s_cbranch_execz .LBB0_30
; %bb.29:
	s_add_i32 s16, s12, 1
	s_lshl_b64 s[0:1], s[16:17], 3
	s_add_u32 s0, s10, s0
	s_addc_u32 s1, s11, s1
	v_mov_b32_e32 v0, 0
	v_mov_b64_e32 v[4:5], s[8:9]
	global_atomic_add_x2 v0, v[4:5], s[0:1]
.LBB0_30:
	s_or_b64 exec, exec, s[14:15]
	v_mov_b32_e32 v0, 0
	buffer_wbl2 sc0 sc1
	s_waitcnt vmcnt(0)
	buffer_inv sc0 sc1
	s_barrier
	global_load_dword v0, v0, s[6:7] offset:40
	s_waitcnt vmcnt(0)
	v_readfirstlane_b32 s18, v0
	s_and_saveexec_b64 s[8:9], vcc
	s_cbranch_execz .LBB0_39
; %bb.31:
	s_mov_b64 s[16:17], exec
	v_mbcnt_lo_u32_b32 v0, s16, 0
	v_mbcnt_hi_u32_b32 v0, s17, v0
	v_cmp_eq_u32_e64 s[0:1], 0, v0
                                        ; implicit-def: $vgpr1
	s_and_saveexec_b64 s[14:15], s[0:1]
	s_cbranch_execz .LBB0_33
; %bb.32:
	s_bcnt1_i32_b64 s0, s[16:17]
	v_mov_b32_e32 v1, 0
	v_mov_b32_e32 v4, s0
	global_atomic_add v1, v1, v4, s[6:7] offset:32 sc0
.LBB0_33:
	s_or_b64 exec, exec, s[14:15]
	s_waitcnt vmcnt(0)
	v_readfirstlane_b32 s0, v1
	s_nop 1
	v_add_u32_e32 v0, s0, v0
	s_add_i32 s0, s18, -1
	v_cmp_eq_u32_sdwa s[0:1], v0, s0 src0_sel:WORD_0 src1_sel:DWORD
	s_and_saveexec_b64 s[14:15], s[0:1]
	s_cbranch_execz .LBB0_36
; %bb.34:
	s_mov_b64 s[16:17], exec
	v_mbcnt_lo_u32_b32 v1, s16, 0
	v_mbcnt_hi_u32_b32 v1, s17, v1
	v_cmp_eq_u32_e64 s[0:1], 0, v1
	s_and_b64 s[0:1], exec, s[0:1]
	s_mov_b64 exec, s[0:1]
	s_cbranch_execz .LBB0_36
; %bb.35:
	s_sub_i32 s0, 0x10000, s18
	s_bcnt1_i32_b64 s1, s[16:17]
	s_mul_i32 s0, s0, s1
	v_mov_b32_e32 v1, 0
	v_mov_b32_e32 v4, s0
	global_atomic_add v1, v4, s[6:7] offset:32
.LBB0_36:
	s_or_b64 exec, exec, s[14:15]
	v_mov_b32_e32 v1, 0
	global_load_dword v4, v1, s[6:7] offset:32 sc1
	v_and_b32_e32 v0, 0xffff0000, v0
	s_waitcnt vmcnt(0)
	v_and_b32_e32 v4, 0xffff0000, v4
	v_cmp_eq_u32_e64 s[0:1], v4, v0
	s_and_b64 exec, exec, s[0:1]
	s_cbranch_execz .LBB0_39
; %bb.37:
	s_mov_b64 s[14:15], 0
.LBB0_38:                               ; =>This Inner Loop Header: Depth=1
	s_sleep 1
	global_load_dword v4, v1, s[6:7] offset:32 sc1
	s_waitcnt vmcnt(0)
	v_and_b32_e32 v4, 0xffff0000, v4
	v_cmp_ne_u32_e64 s[0:1], v4, v0
	s_or_b64 s[14:15], s[0:1], s[14:15]
	s_andn2_b64 exec, exec, s[14:15]
	s_cbranch_execnz .LBB0_38
.LBB0_39:
	s_or_b64 exec, exec, s[8:9]
	v_or_b32_e32 v0, s5, v2
	v_or_b32_e32 v0, s2, v0
	v_or3_b32 v0, v0, s4, v3
	v_cmp_eq_u32_e64 s[0:1], 0, v0
	s_and_saveexec_b64 s[2:3], s[0:1]
	s_cbranch_execz .LBB0_49
; %bb.40:
	v_mov_b32_e32 v3, 0
	global_load_dwordx2 v[0:1], v3, s[6:7]
	global_load_dword v2, v3, s[6:7] offset:12
	s_mov_b64 s[4:5], exec
	v_mbcnt_lo_u32_b32 v3, s4, 0
	v_mbcnt_hi_u32_b32 v3, s5, v3
	v_cmp_eq_u32_e64 s[0:1], 0, v3
                                        ; implicit-def: $vgpr4
	s_and_saveexec_b64 s[8:9], s[0:1]
	s_cbranch_execz .LBB0_42
; %bb.41:
	s_bcnt1_i32_b64 s0, s[4:5]
	v_mov_b32_e32 v4, s0
	s_waitcnt vmcnt(1)
	global_atomic_add v4, v[0:1], v4, off sc0 sc1
.LBB0_42:
	s_or_b64 exec, exec, s[8:9]
	s_waitcnt vmcnt(0)
	v_readfirstlane_b32 s0, v4
	v_add_u32_e32 v4, -1, v2
	s_movk_i32 s14, 0xff
	v_add_u32_e32 v3, s0, v3
	v_cmp_ne_u32_sdwa s[0:1], v3, v4 src0_sel:BYTE_0 src1_sel:DWORD
	s_and_saveexec_b64 s[4:5], s[0:1]
	s_xor_b64 s[4:5], exec, s[4:5]
	s_cbranch_execz .LBB0_46
; %bb.43:
	s_mov_b64 s[8:9], 0
.LBB0_44:                               ; =>This Inner Loop Header: Depth=1
	s_sleep 2
	global_load_dword v2, v[0:1], off sc0 sc1
	s_waitcnt vmcnt(0)
	v_xor_b32_e32 v2, v2, v3
	v_cmp_lt_u32_e64 s[0:1], s14, v2
	s_or_b64 s[8:9], s[0:1], s[8:9]
	s_andn2_b64 exec, exec, s[8:9]
	s_cbranch_execnz .LBB0_44
; %bb.45:
	s_or_b64 exec, exec, s[8:9]
                                        ; implicit-def: $vgpr2
                                        ; implicit-def: $vgpr0_vgpr1
.LBB0_46:
	s_andn2_saveexec_b64 s[0:1], s[4:5]
	s_cbranch_execz .LBB0_49
; %bb.47:
	s_mov_b64 s[4:5], exec
	v_mbcnt_lo_u32_b32 v3, s4, 0
	v_mbcnt_hi_u32_b32 v3, s5, v3
	v_cmp_eq_u32_e64 s[0:1], 0, v3
	s_and_b64 s[0:1], exec, s[0:1]
	s_mov_b64 exec, s[0:1]
	s_cbranch_execz .LBB0_49
; %bb.48:
	v_sub_u32_e32 v2, 0x100, v2
	s_bcnt1_i32_b64 s0, s[4:5]
	v_mul_lo_u32 v2, v2, s0
	global_atomic_add v[0:1], v2, off sc1
.LBB0_49:
	s_or_b64 exec, exec, s[2:3]
	s_and_saveexec_b64 s[0:1], vcc
	s_cbranch_execz .LBB0_58
; %bb.50:
	s_mov_b64 s[4:5], exec
	v_mbcnt_lo_u32_b32 v0, s4, 0
	v_mbcnt_hi_u32_b32 v0, s5, v0
	v_cmp_eq_u32_e32 vcc, 0, v0
                                        ; implicit-def: $vgpr1
	s_and_saveexec_b64 s[2:3], vcc
	s_cbranch_execz .LBB0_52
; %bb.51:
	s_bcnt1_i32_b64 s4, s[4:5]
	v_mov_b32_e32 v1, 0
	v_mov_b32_e32 v2, s4
	global_atomic_add v1, v1, v2, s[6:7] offset:32 sc0
.LBB0_52:
	s_or_b64 exec, exec, s[2:3]
	s_waitcnt vmcnt(0)
	v_readfirstlane_b32 s2, v1
	s_nop 1
	v_add_u32_e32 v0, s2, v0
	s_add_i32 s2, s18, -1
	v_cmp_eq_u32_sdwa s[4:5], v0, s2 src0_sel:WORD_0 src1_sel:DWORD
	s_and_saveexec_b64 s[2:3], s[4:5]
	s_cbranch_execz .LBB0_55
; %bb.53:
	s_mov_b64 s[4:5], exec
	v_mbcnt_lo_u32_b32 v1, s4, 0
	v_mbcnt_hi_u32_b32 v1, s5, v1
	v_cmp_eq_u32_e32 vcc, 0, v1
	s_and_b64 s[8:9], exec, vcc
	s_mov_b64 exec, s[8:9]
	s_cbranch_execz .LBB0_55
; %bb.54:
	s_sub_i32 s8, 0x10000, s18
	s_bcnt1_i32_b64 s4, s[4:5]
	s_mul_i32 s4, s8, s4
	v_mov_b32_e32 v1, 0
	v_mov_b32_e32 v2, s4
	global_atomic_add v1, v2, s[6:7] offset:32
.LBB0_55:
	s_or_b64 exec, exec, s[2:3]
	v_mov_b32_e32 v1, 0
	global_load_dword v2, v1, s[6:7] offset:32 sc1
	v_and_b32_e32 v0, 0xffff0000, v0
	s_waitcnt vmcnt(0)
	v_and_b32_e32 v2, 0xffff0000, v2
	v_cmp_eq_u32_e32 vcc, v2, v0
	s_and_b64 exec, exec, vcc
	s_cbranch_execz .LBB0_58
; %bb.56:
	s_mov_b64 s[2:3], 0
.LBB0_57:                               ; =>This Inner Loop Header: Depth=1
	s_sleep 1
	global_load_dword v2, v1, s[6:7] offset:32 sc1
	s_waitcnt vmcnt(0)
	v_and_b32_e32 v2, 0xffff0000, v2
	v_cmp_ne_u32_e32 vcc, v2, v0
	s_or_b64 s[2:3], vcc, s[2:3]
	s_andn2_b64 exec, exec, s[2:3]
	s_cbranch_execnz .LBB0_57
.LBB0_58:
	s_or_b64 exec, exec, s[0:1]
	s_cmp_lg_u32 s12, 0
	s_barrier
	s_cbranch_scc0 .LBB0_60
; %bb.59:
	s_endpgm
.LBB0_60:
	s_cmp_eq_u32 s13, 0
	s_cbranch_scc1 .LBB0_64
; %bb.61:
	s_add_u32 s2, s10, 8
	s_mov_b32 s1, 0
	s_mov_b32 s0, s13
	s_addc_u32 s3, s11, 0
	v_mov_b64_e32 v[0:1], 0
	v_mov_b32_e32 v2, 0
.LBB0_62:                               ; =>This Inner Loop Header: Depth=1
	global_load_dwordx2 v[4:5], v2, s[2:3]
	s_add_u32 s2, s2, 8
	s_addc_u32 s3, s3, 0
	s_add_u32 s0, s0, -1
	s_addc_u32 s1, s1, -1
	s_cmp_eq_u64 s[0:1], 0
	s_waitcnt vmcnt(0)
	v_lshl_add_u64 v[0:1], v[4:5], 0, v[0:1]
	s_cbranch_scc0 .LBB0_62
; %bb.63:
	v_mov_b32_e32 v2, 0
	global_store_dwordx2 v2, v[0:1], s[10:11]
	s_endpgm
.LBB0_64:
	v_mov_b64_e32 v[0:1], 0
	v_mov_b32_e32 v2, 0
	global_store_dwordx2 v2, v[0:1], s[10:11]
	s_endpgm
	.section	.rodata,"a",@progbits
	.p2align	6, 0x0
	.amdhsa_kernel _Z8test_gwsPjjPyS0_
		.amdhsa_group_segment_fixed_size 0
		.amdhsa_private_segment_fixed_size 0
		.amdhsa_kernarg_size 288
		.amdhsa_user_sgpr_count 2
		.amdhsa_user_sgpr_dispatch_ptr 0
		.amdhsa_user_sgpr_queue_ptr 0
		.amdhsa_user_sgpr_kernarg_segment_ptr 1
		.amdhsa_user_sgpr_dispatch_id 0
		.amdhsa_user_sgpr_kernarg_preload_length 0
		.amdhsa_user_sgpr_kernarg_preload_offset 0
		.amdhsa_user_sgpr_private_segment_size 0
		.amdhsa_uses_dynamic_stack 0
		.amdhsa_enable_private_segment 0
		.amdhsa_system_sgpr_workgroup_id_x 1
		.amdhsa_system_sgpr_workgroup_id_y 1
		.amdhsa_system_sgpr_workgroup_id_z 1
		.amdhsa_system_sgpr_workgroup_info 0
		.amdhsa_system_vgpr_workitem_id 2
		.amdhsa_next_free_vgpr 24
		.amdhsa_next_free_sgpr 23
		.amdhsa_accum_offset 24
		.amdhsa_reserve_vcc 1
		.amdhsa_float_round_mode_32 0
		.amdhsa_float_round_mode_16_64 0
		.amdhsa_float_denorm_mode_32 3
		.amdhsa_float_denorm_mode_16_64 3
		.amdhsa_dx10_clamp 1
		.amdhsa_ieee_mode 1
		.amdhsa_fp16_overflow 0
		.amdhsa_tg_split 0
		.amdhsa_exception_fp_ieee_invalid_op 0
		.amdhsa_exception_fp_denorm_src 0
		.amdhsa_exception_fp_ieee_div_zero 0
		.amdhsa_exception_fp_ieee_overflow 0
		.amdhsa_exception_fp_ieee_underflow 0
		.amdhsa_exception_fp_ieee_inexact 0
		.amdhsa_exception_int_div_zero 0
	.end_amdhsa_kernel
	.text
.Lfunc_end0:
	.size	_Z8test_gwsPjjPyS0_, .Lfunc_end0-_Z8test_gwsPjjPyS0_
                                        ; -- End function
	.set _Z8test_gwsPjjPyS0_.num_vgpr, 24
	.set _Z8test_gwsPjjPyS0_.num_agpr, 0
	.set _Z8test_gwsPjjPyS0_.numbered_sgpr, 23
	.set _Z8test_gwsPjjPyS0_.num_named_barrier, 0
	.set _Z8test_gwsPjjPyS0_.private_seg_size, 0
	.set _Z8test_gwsPjjPyS0_.uses_vcc, 1
	.set _Z8test_gwsPjjPyS0_.uses_flat_scratch, 0
	.set _Z8test_gwsPjjPyS0_.has_dyn_sized_stack, 0
	.set _Z8test_gwsPjjPyS0_.has_recursion, 0
	.set _Z8test_gwsPjjPyS0_.has_indirect_call, 0
	.section	.AMDGPU.csdata,"",@progbits
; Kernel info:
; codeLenInByte = 2196
; TotalNumSgprs: 29
; NumVgprs: 24
; NumAgprs: 0
; TotalNumVgprs: 24
; ScratchSize: 0
; MemoryBound: 0
; FloatMode: 240
; IeeeMode: 1
; LDSByteSize: 0 bytes/workgroup (compile time only)
; SGPRBlocks: 3
; VGPRBlocks: 2
; NumSGPRsForWavesPerEU: 29
; NumVGPRsForWavesPerEU: 24
; AccumOffset: 24
; Occupancy: 8
; WaveLimiterHint : 1
; COMPUTE_PGM_RSRC2:SCRATCH_EN: 0
; COMPUTE_PGM_RSRC2:USER_SGPR: 2
; COMPUTE_PGM_RSRC2:TRAP_HANDLER: 0
; COMPUTE_PGM_RSRC2:TGID_X_EN: 1
; COMPUTE_PGM_RSRC2:TGID_Y_EN: 1
; COMPUTE_PGM_RSRC2:TGID_Z_EN: 1
; COMPUTE_PGM_RSRC2:TIDIG_COMP_CNT: 2
; COMPUTE_PGM_RSRC3_GFX90A:ACCUM_OFFSET: 5
; COMPUTE_PGM_RSRC3_GFX90A:TG_SPLIT: 0
	.text
	.p2alignl 6, 3212836864
	.fill 256, 4, 3212836864
	.section	.AMDGPU.gpr_maximums,"",@progbits
	.set amdgpu.max_num_vgpr, 0
	.set amdgpu.max_num_agpr, 0
	.set amdgpu.max_num_sgpr, 0
	.text
	.type	__hip_cuid_1077331f09488e7a,@object ; @__hip_cuid_1077331f09488e7a
	.section	.bss,"aw",@nobits
	.globl	__hip_cuid_1077331f09488e7a
__hip_cuid_1077331f09488e7a:
	.byte	0                               ; 0x0
	.size	__hip_cuid_1077331f09488e7a, 1

	.ident	"AMD clang version 22.0.0git (https://github.com/RadeonOpenCompute/llvm-project roc-7.2.4 26084 f58b06dce1f9c15707c5f808fd002e18c2accf7e)"
	.section	".note.GNU-stack","",@progbits
	.addrsig
	.addrsig_sym __hip_cuid_1077331f09488e7a
	.amdgpu_metadata
---
amdhsa.kernels:
  - .agpr_count:     0
    .args:
      - .address_space:  global
        .offset:         0
        .size:           8
        .value_kind:     global_buffer
      - .offset:         8
        .size:           4
        .value_kind:     by_value
      - .address_space:  global
        .offset:         16
        .size:           8
        .value_kind:     global_buffer
      - .address_space:  global
        .offset:         24
        .size:           8
        .value_kind:     global_buffer
      - .offset:         32
        .size:           4
        .value_kind:     hidden_block_count_x
      - .offset:         36
        .size:           4
        .value_kind:     hidden_block_count_y
      - .offset:         40
        .size:           4
        .value_kind:     hidden_block_count_z
      - .offset:         44
        .size:           2
        .value_kind:     hidden_group_size_x
      - .offset:         46
        .size:           2
        .value_kind:     hidden_group_size_y
      - .offset:         48
        .size:           2
        .value_kind:     hidden_group_size_z
      - .offset:         50
        .size:           2
        .value_kind:     hidden_remainder_x
      - .offset:         52
        .size:           2
        .value_kind:     hidden_remainder_y
      - .offset:         54
        .size:           2
        .value_kind:     hidden_remainder_z
      - .offset:         72
        .size:           8
        .value_kind:     hidden_global_offset_x
      - .offset:         80
        .size:           8
        .value_kind:     hidden_global_offset_y
      - .offset:         88
        .size:           8
        .value_kind:     hidden_global_offset_z
      - .offset:         96
        .size:           2
        .value_kind:     hidden_grid_dims
      - .offset:         120
        .size:           8
        .value_kind:     hidden_multigrid_sync_arg
      - .offset:         152
        .size:           4
        .value_kind:     hidden_dynamic_lds_size
    .group_segment_fixed_size: 0
    .kernarg_segment_align: 8
    .kernarg_segment_size: 288
    .language:       OpenCL C
    .language_version:
      - 2
      - 0
    .max_flat_workgroup_size: 1024
    .name:           _Z8test_gwsPjjPyS0_
    .private_segment_fixed_size: 0
    .sgpr_count:     29
    .sgpr_spill_count: 0
    .symbol:         _Z8test_gwsPjjPyS0_.kd
    .uniform_work_group_size: 1
    .uses_dynamic_stack: false
    .vgpr_count:     24
    .vgpr_spill_count: 0
    .wavefront_size: 64
amdhsa.target:   amdgcn-amd-amdhsa--gfx950
amdhsa.version:
  - 1
  - 2
...

	.end_amdgpu_metadata
